;; amdgpu-corpus repo=ROCm/rocFFT kind=compiled arch=gfx1201 opt=O3
	.text
	.amdgcn_target "amdgcn-amd-amdhsa--gfx1201"
	.amdhsa_code_object_version 6
	.protected	fft_rtc_fwd_len169_factors_13_13_wgs_247_tpt_13_halfLds_dp_op_CI_CI_unitstride_sbrr_dirReg ; -- Begin function fft_rtc_fwd_len169_factors_13_13_wgs_247_tpt_13_halfLds_dp_op_CI_CI_unitstride_sbrr_dirReg
	.globl	fft_rtc_fwd_len169_factors_13_13_wgs_247_tpt_13_halfLds_dp_op_CI_CI_unitstride_sbrr_dirReg
	.p2align	8
	.type	fft_rtc_fwd_len169_factors_13_13_wgs_247_tpt_13_halfLds_dp_op_CI_CI_unitstride_sbrr_dirReg,@function
fft_rtc_fwd_len169_factors_13_13_wgs_247_tpt_13_halfLds_dp_op_CI_CI_unitstride_sbrr_dirReg: ; @fft_rtc_fwd_len169_factors_13_13_wgs_247_tpt_13_halfLds_dp_op_CI_CI_unitstride_sbrr_dirReg
; %bb.0:
	s_load_b128 s[8:11], s[0:1], 0x0
	v_mul_u32_u24_e32 v1, 0x13b2, v0
	s_clause 0x1
	s_load_b128 s[4:7], s[0:1], 0x58
	s_load_b128 s[12:15], s[0:1], 0x18
	v_mov_b32_e32 v4, 0
	v_lshrrev_b32_e32 v2, 16, v1
	v_mov_b32_e32 v1, 0
	s_delay_alu instid0(VALU_DEP_2) | instskip(NEXT) | instid1(VALU_DEP_2)
	v_mad_co_u64_u32 v[58:59], null, ttmp9, 19, v[2:3]
	v_mov_b32_e32 v59, v1
	s_delay_alu instid0(VALU_DEP_2) | instskip(SKIP_2) | instid1(VALU_DEP_2)
	v_dual_mov_b32 v5, 0 :: v_dual_mov_b32 v54, v58
	s_wait_kmcnt 0x0
	v_cmp_lt_u64_e64 s2, s[10:11], 2
	v_dual_mov_b32 v53, v5 :: v_dual_mov_b32 v52, v4
	v_mov_b32_e32 v55, v59
	s_delay_alu instid0(VALU_DEP_3)
	s_and_b32 vcc_lo, exec_lo, s2
	s_cbranch_vccnz .LBB0_8
; %bb.1:
	s_load_b64 s[2:3], s[0:1], 0x10
	v_mov_b32_e32 v4, 0
	v_dual_mov_b32 v5, 0 :: v_dual_mov_b32 v6, v58
	v_mov_b32_e32 v7, v59
	s_add_nc_u64 s[16:17], s[14:15], 8
	s_add_nc_u64 s[18:19], s[12:13], 8
	s_delay_alu instid0(VALU_DEP_2)
	v_dual_mov_b32 v53, v5 :: v_dual_mov_b32 v52, v4
	s_mov_b64 s[20:21], 1
	s_wait_kmcnt 0x0
	s_add_nc_u64 s[22:23], s[2:3], 8
	s_mov_b32 s3, 0
.LBB0_2:                                ; =>This Inner Loop Header: Depth=1
	s_load_b64 s[24:25], s[22:23], 0x0
                                        ; implicit-def: $vgpr54_vgpr55
	s_mov_b32 s2, exec_lo
	s_wait_kmcnt 0x0
	v_or_b32_e32 v2, s25, v7
	s_delay_alu instid0(VALU_DEP_1)
	v_cmpx_ne_u64_e32 0, v[1:2]
	s_wait_alu 0xfffe
	s_xor_b32 s26, exec_lo, s2
	s_cbranch_execz .LBB0_4
; %bb.3:                                ;   in Loop: Header=BB0_2 Depth=1
	s_cvt_f32_u32 s2, s24
	s_cvt_f32_u32 s27, s25
	s_sub_nc_u64 s[30:31], 0, s[24:25]
	s_wait_alu 0xfffe
	s_delay_alu instid0(SALU_CYCLE_1) | instskip(SKIP_1) | instid1(SALU_CYCLE_2)
	s_fmamk_f32 s2, s27, 0x4f800000, s2
	s_wait_alu 0xfffe
	v_s_rcp_f32 s2, s2
	s_delay_alu instid0(TRANS32_DEP_1) | instskip(SKIP_1) | instid1(SALU_CYCLE_2)
	s_mul_f32 s2, s2, 0x5f7ffffc
	s_wait_alu 0xfffe
	s_mul_f32 s27, s2, 0x2f800000
	s_wait_alu 0xfffe
	s_delay_alu instid0(SALU_CYCLE_2) | instskip(SKIP_1) | instid1(SALU_CYCLE_2)
	s_trunc_f32 s27, s27
	s_wait_alu 0xfffe
	s_fmamk_f32 s2, s27, 0xcf800000, s2
	s_cvt_u32_f32 s29, s27
	s_wait_alu 0xfffe
	s_delay_alu instid0(SALU_CYCLE_1) | instskip(SKIP_1) | instid1(SALU_CYCLE_2)
	s_cvt_u32_f32 s28, s2
	s_wait_alu 0xfffe
	s_mul_u64 s[34:35], s[30:31], s[28:29]
	s_wait_alu 0xfffe
	s_mul_hi_u32 s37, s28, s35
	s_mul_i32 s36, s28, s35
	s_mul_hi_u32 s2, s28, s34
	s_mul_i32 s33, s29, s34
	s_wait_alu 0xfffe
	s_add_nc_u64 s[36:37], s[2:3], s[36:37]
	s_mul_hi_u32 s27, s29, s34
	s_mul_hi_u32 s38, s29, s35
	s_add_co_u32 s2, s36, s33
	s_wait_alu 0xfffe
	s_add_co_ci_u32 s2, s37, s27
	s_mul_i32 s34, s29, s35
	s_add_co_ci_u32 s35, s38, 0
	s_wait_alu 0xfffe
	s_add_nc_u64 s[34:35], s[2:3], s[34:35]
	s_wait_alu 0xfffe
	v_add_co_u32 v2, s2, s28, s34
	s_delay_alu instid0(VALU_DEP_1) | instskip(SKIP_1) | instid1(VALU_DEP_1)
	s_cmp_lg_u32 s2, 0
	s_add_co_ci_u32 s29, s29, s35
	v_readfirstlane_b32 s28, v2
	s_wait_alu 0xfffe
	s_delay_alu instid0(VALU_DEP_1)
	s_mul_u64 s[30:31], s[30:31], s[28:29]
	s_wait_alu 0xfffe
	s_mul_hi_u32 s35, s28, s31
	s_mul_i32 s34, s28, s31
	s_mul_hi_u32 s2, s28, s30
	s_mul_i32 s33, s29, s30
	s_wait_alu 0xfffe
	s_add_nc_u64 s[34:35], s[2:3], s[34:35]
	s_mul_hi_u32 s27, s29, s30
	s_mul_hi_u32 s28, s29, s31
	s_wait_alu 0xfffe
	s_add_co_u32 s2, s34, s33
	s_add_co_ci_u32 s2, s35, s27
	s_mul_i32 s30, s29, s31
	s_add_co_ci_u32 s31, s28, 0
	s_wait_alu 0xfffe
	s_add_nc_u64 s[30:31], s[2:3], s[30:31]
	s_wait_alu 0xfffe
	v_add_co_u32 v8, s2, v2, s30
	s_delay_alu instid0(VALU_DEP_1) | instskip(SKIP_1) | instid1(VALU_DEP_1)
	s_cmp_lg_u32 s2, 0
	s_add_co_ci_u32 s2, s29, s31
	v_mul_hi_u32 v12, v6, v8
	s_wait_alu 0xfffe
	v_mad_co_u64_u32 v[2:3], null, v6, s2, 0
	v_mad_co_u64_u32 v[8:9], null, v7, v8, 0
	;; [unrolled: 1-line block ×3, first 2 shown]
	s_delay_alu instid0(VALU_DEP_3) | instskip(SKIP_1) | instid1(VALU_DEP_4)
	v_add_co_u32 v2, vcc_lo, v12, v2
	s_wait_alu 0xfffd
	v_add_co_ci_u32_e32 v3, vcc_lo, 0, v3, vcc_lo
	s_delay_alu instid0(VALU_DEP_2) | instskip(SKIP_1) | instid1(VALU_DEP_2)
	v_add_co_u32 v2, vcc_lo, v2, v8
	s_wait_alu 0xfffd
	v_add_co_ci_u32_e32 v2, vcc_lo, v3, v9, vcc_lo
	s_wait_alu 0xfffd
	v_add_co_ci_u32_e32 v3, vcc_lo, 0, v11, vcc_lo
	s_delay_alu instid0(VALU_DEP_2) | instskip(SKIP_1) | instid1(VALU_DEP_2)
	v_add_co_u32 v8, vcc_lo, v2, v10
	s_wait_alu 0xfffd
	v_add_co_ci_u32_e32 v9, vcc_lo, 0, v3, vcc_lo
	s_delay_alu instid0(VALU_DEP_2) | instskip(SKIP_1) | instid1(VALU_DEP_3)
	v_mul_lo_u32 v10, s25, v8
	v_mad_co_u64_u32 v[2:3], null, s24, v8, 0
	v_mul_lo_u32 v11, s24, v9
	s_delay_alu instid0(VALU_DEP_2) | instskip(NEXT) | instid1(VALU_DEP_2)
	v_sub_co_u32 v2, vcc_lo, v6, v2
	v_add3_u32 v3, v3, v11, v10
	s_delay_alu instid0(VALU_DEP_1) | instskip(SKIP_1) | instid1(VALU_DEP_1)
	v_sub_nc_u32_e32 v10, v7, v3
	s_wait_alu 0xfffd
	v_subrev_co_ci_u32_e64 v10, s2, s25, v10, vcc_lo
	v_add_co_u32 v11, s2, v8, 2
	s_wait_alu 0xf1ff
	v_add_co_ci_u32_e64 v12, s2, 0, v9, s2
	v_sub_co_u32 v13, s2, v2, s24
	v_sub_co_ci_u32_e32 v3, vcc_lo, v7, v3, vcc_lo
	s_wait_alu 0xf1ff
	v_subrev_co_ci_u32_e64 v10, s2, 0, v10, s2
	s_delay_alu instid0(VALU_DEP_3) | instskip(NEXT) | instid1(VALU_DEP_3)
	v_cmp_le_u32_e32 vcc_lo, s24, v13
	v_cmp_eq_u32_e64 s2, s25, v3
	s_wait_alu 0xfffd
	v_cndmask_b32_e64 v13, 0, -1, vcc_lo
	v_cmp_le_u32_e32 vcc_lo, s25, v10
	s_wait_alu 0xfffd
	v_cndmask_b32_e64 v14, 0, -1, vcc_lo
	v_cmp_le_u32_e32 vcc_lo, s24, v2
	;; [unrolled: 3-line block ×3, first 2 shown]
	s_wait_alu 0xfffd
	v_cndmask_b32_e64 v15, 0, -1, vcc_lo
	v_cmp_eq_u32_e32 vcc_lo, s25, v10
	s_wait_alu 0xf1ff
	s_delay_alu instid0(VALU_DEP_2)
	v_cndmask_b32_e64 v2, v15, v2, s2
	s_wait_alu 0xfffd
	v_cndmask_b32_e32 v10, v14, v13, vcc_lo
	v_add_co_u32 v13, vcc_lo, v8, 1
	s_wait_alu 0xfffd
	v_add_co_ci_u32_e32 v14, vcc_lo, 0, v9, vcc_lo
	s_delay_alu instid0(VALU_DEP_3) | instskip(SKIP_1) | instid1(VALU_DEP_2)
	v_cmp_ne_u32_e32 vcc_lo, 0, v10
	s_wait_alu 0xfffd
	v_dual_cndmask_b32 v3, v14, v12 :: v_dual_cndmask_b32 v10, v13, v11
	v_cmp_ne_u32_e32 vcc_lo, 0, v2
	s_wait_alu 0xfffd
	s_delay_alu instid0(VALU_DEP_2)
	v_dual_cndmask_b32 v55, v9, v3 :: v_dual_cndmask_b32 v54, v8, v10
.LBB0_4:                                ;   in Loop: Header=BB0_2 Depth=1
	s_wait_alu 0xfffe
	s_and_not1_saveexec_b32 s2, s26
	s_cbranch_execz .LBB0_6
; %bb.5:                                ;   in Loop: Header=BB0_2 Depth=1
	v_cvt_f32_u32_e32 v2, s24
	s_sub_co_i32 s26, 0, s24
	v_mov_b32_e32 v55, v1
	s_delay_alu instid0(VALU_DEP_2) | instskip(NEXT) | instid1(TRANS32_DEP_1)
	v_rcp_iflag_f32_e32 v2, v2
	v_mul_f32_e32 v2, 0x4f7ffffe, v2
	s_delay_alu instid0(VALU_DEP_1) | instskip(SKIP_1) | instid1(VALU_DEP_1)
	v_cvt_u32_f32_e32 v2, v2
	s_wait_alu 0xfffe
	v_mul_lo_u32 v3, s26, v2
	s_delay_alu instid0(VALU_DEP_1) | instskip(NEXT) | instid1(VALU_DEP_1)
	v_mul_hi_u32 v3, v2, v3
	v_add_nc_u32_e32 v2, v2, v3
	s_delay_alu instid0(VALU_DEP_1) | instskip(NEXT) | instid1(VALU_DEP_1)
	v_mul_hi_u32 v2, v6, v2
	v_mul_lo_u32 v3, v2, s24
	v_add_nc_u32_e32 v8, 1, v2
	s_delay_alu instid0(VALU_DEP_2) | instskip(NEXT) | instid1(VALU_DEP_1)
	v_sub_nc_u32_e32 v3, v6, v3
	v_subrev_nc_u32_e32 v9, s24, v3
	v_cmp_le_u32_e32 vcc_lo, s24, v3
	s_wait_alu 0xfffd
	s_delay_alu instid0(VALU_DEP_2) | instskip(NEXT) | instid1(VALU_DEP_1)
	v_dual_cndmask_b32 v3, v3, v9 :: v_dual_cndmask_b32 v2, v2, v8
	v_cmp_le_u32_e32 vcc_lo, s24, v3
	s_delay_alu instid0(VALU_DEP_2) | instskip(SKIP_1) | instid1(VALU_DEP_1)
	v_add_nc_u32_e32 v8, 1, v2
	s_wait_alu 0xfffd
	v_cndmask_b32_e32 v54, v2, v8, vcc_lo
.LBB0_6:                                ;   in Loop: Header=BB0_2 Depth=1
	s_wait_alu 0xfffe
	s_or_b32 exec_lo, exec_lo, s2
	v_mul_lo_u32 v8, v55, s24
	s_delay_alu instid0(VALU_DEP_2)
	v_mul_lo_u32 v9, v54, s25
	s_load_b64 s[26:27], s[18:19], 0x0
	v_mad_co_u64_u32 v[2:3], null, v54, s24, 0
	s_load_b64 s[24:25], s[16:17], 0x0
	s_add_nc_u64 s[20:21], s[20:21], 1
	s_add_nc_u64 s[16:17], s[16:17], 8
	s_wait_alu 0xfffe
	v_cmp_ge_u64_e64 s2, s[20:21], s[10:11]
	s_add_nc_u64 s[18:19], s[18:19], 8
	s_add_nc_u64 s[22:23], s[22:23], 8
	v_add3_u32 v3, v3, v9, v8
	v_sub_co_u32 v2, vcc_lo, v6, v2
	s_wait_alu 0xfffd
	s_delay_alu instid0(VALU_DEP_2) | instskip(SKIP_2) | instid1(VALU_DEP_1)
	v_sub_co_ci_u32_e32 v3, vcc_lo, v7, v3, vcc_lo
	s_and_b32 vcc_lo, exec_lo, s2
	s_wait_kmcnt 0x0
	v_mul_lo_u32 v6, s26, v3
	v_mul_lo_u32 v7, s27, v2
	v_mad_co_u64_u32 v[4:5], null, s26, v2, v[4:5]
	v_mul_lo_u32 v3, s24, v3
	v_mul_lo_u32 v8, s25, v2
	v_mad_co_u64_u32 v[52:53], null, s24, v2, v[52:53]
	s_delay_alu instid0(VALU_DEP_4) | instskip(NEXT) | instid1(VALU_DEP_2)
	v_add3_u32 v5, v7, v5, v6
	v_add3_u32 v53, v8, v53, v3
	s_wait_alu 0xfffe
	s_cbranch_vccnz .LBB0_8
; %bb.7:                                ;   in Loop: Header=BB0_2 Depth=1
	v_dual_mov_b32 v6, v54 :: v_dual_mov_b32 v7, v55
	s_branch .LBB0_2
.LBB0_8:
	s_load_b64 s[0:1], s[0:1], 0x28
	v_mul_hi_u32 v1, 0x13b13b14, v0
	s_lshl_b64 s[2:3], s[10:11], 3
                                        ; implicit-def: $sgpr10_sgpr11
                                        ; implicit-def: $vgpr59
	s_wait_kmcnt 0x0
	v_cmp_gt_u64_e32 vcc_lo, s[0:1], v[54:55]
	v_cmp_le_u64_e64 s0, s[0:1], v[54:55]
	s_delay_alu instid0(VALU_DEP_1)
	s_and_saveexec_b32 s1, s0
	s_wait_alu 0xfffe
	s_xor_b32 s0, exec_lo, s1
; %bb.9:
	v_mul_u32_u24_e32 v1, 13, v1
	s_mov_b64 s[10:11], 0
                                        ; implicit-def: $vgpr4_vgpr5
	s_delay_alu instid0(VALU_DEP_1)
	v_sub_nc_u32_e32 v59, v0, v1
                                        ; implicit-def: $vgpr1
                                        ; implicit-def: $vgpr0
; %bb.10:
	s_wait_alu 0xfffe
	s_or_saveexec_b32 s1, s0
	v_dual_mov_b32 v57, s11 :: v_dual_mov_b32 v56, s10
	s_add_nc_u64 s[42:43], s[14:15], s[2:3]
                                        ; implicit-def: $vgpr2_vgpr3
                                        ; implicit-def: $vgpr6_vgpr7
                                        ; implicit-def: $vgpr10_vgpr11
                                        ; implicit-def: $vgpr14_vgpr15
                                        ; implicit-def: $vgpr18_vgpr19
                                        ; implicit-def: $vgpr26_vgpr27
                                        ; implicit-def: $vgpr30_vgpr31
                                        ; implicit-def: $vgpr34_vgpr35
                                        ; implicit-def: $vgpr38_vgpr39
                                        ; implicit-def: $vgpr46_vgpr47
                                        ; implicit-def: $vgpr42_vgpr43
                                        ; implicit-def: $vgpr50_vgpr51
                                        ; implicit-def: $vgpr22_vgpr23
	s_wait_alu 0xfffe
	s_xor_b32 exec_lo, exec_lo, s1
	s_cbranch_execz .LBB0_12
; %bb.11:
	s_add_nc_u64 s[2:3], s[12:13], s[2:3]
	v_mov_b32_e32 v60, 0
	s_load_b64 s[2:3], s[2:3], 0x0
	s_wait_kmcnt 0x0
	v_mul_lo_u32 v6, s3, v54
	v_mul_lo_u32 v7, s2, v55
	v_mad_co_u64_u32 v[2:3], null, s2, v54, 0
	s_delay_alu instid0(VALU_DEP_1) | instskip(SKIP_1) | instid1(VALU_DEP_2)
	v_add3_u32 v3, v3, v7, v6
	v_mul_u32_u24_e32 v6, 13, v1
	v_lshlrev_b64_e32 v[1:2], 4, v[2:3]
	v_lshlrev_b64_e32 v[3:4], 4, v[4:5]
	s_delay_alu instid0(VALU_DEP_3) | instskip(NEXT) | instid1(VALU_DEP_3)
	v_sub_nc_u32_e32 v59, v0, v6
	v_add_co_u32 v0, s0, s4, v1
	s_wait_alu 0xf1ff
	s_delay_alu instid0(VALU_DEP_4) | instskip(NEXT) | instid1(VALU_DEP_3)
	v_add_co_ci_u32_e64 v1, s0, s5, v2, s0
	v_lshlrev_b32_e32 v2, 4, v59
	s_delay_alu instid0(VALU_DEP_3) | instskip(SKIP_1) | instid1(VALU_DEP_3)
	v_add_co_u32 v0, s0, v0, v3
	s_wait_alu 0xf1ff
	v_add_co_ci_u32_e64 v1, s0, v1, v4, s0
	v_dual_mov_b32 v56, v59 :: v_dual_mov_b32 v57, v60
	s_delay_alu instid0(VALU_DEP_3) | instskip(SKIP_1) | instid1(VALU_DEP_3)
	v_add_co_u32 v0, s0, v0, v2
	s_wait_alu 0xf1ff
	v_add_co_ci_u32_e64 v1, s0, 0, v1, s0
	s_clause 0xc
	global_load_b128 v[20:23], v[0:1], off
	global_load_b128 v[48:51], v[0:1], off offset:208
	global_load_b128 v[40:43], v[0:1], off offset:416
	;; [unrolled: 1-line block ×12, first 2 shown]
.LBB0_12:
	s_or_b32 exec_lo, exec_lo, s1
	s_wait_loadcnt 0xb
	v_add_f64_e32 v[64:65], v[50:51], v[22:23]
	v_add_f64_e32 v[62:63], v[48:49], v[20:21]
	s_wait_loadcnt 0x2
	v_add_f64_e32 v[96:97], v[10:11], v[46:47]
	v_add_f64_e64 v[100:101], v[46:47], -v[10:11]
	v_add_f64_e32 v[94:95], v[8:9], v[44:45]
	v_add_f64_e64 v[98:99], v[44:45], -v[8:9]
	s_wait_loadcnt 0x0
	v_add_f64_e32 v[72:73], v[0:1], v[48:49]
	v_add_f64_e32 v[60:61], v[2:3], v[50:51]
	v_add_f64_e64 v[70:71], v[48:49], -v[0:1]
	v_add_f64_e64 v[48:49], v[50:51], -v[2:3]
	v_add_f64_e32 v[50:51], v[14:15], v[38:39]
	v_add_f64_e64 v[84:85], v[38:39], -v[14:15]
	v_add_f64_e32 v[78:79], v[12:13], v[36:37]
	v_add_f64_e64 v[82:83], v[36:37], -v[12:13]
	s_mov_b32 s16, 0xebaa3ed8
	s_mov_b32 s17, 0x3fbedb7d
	;; [unrolled: 1-line block ×7, first 2 shown]
	v_add_f64_e32 v[80:81], v[4:5], v[40:41]
	v_add_f64_e32 v[66:67], v[18:19], v[34:35]
	v_add_f64_e64 v[68:69], v[34:35], -v[18:19]
	s_mov_b32 s19, 0x3fefc445
	s_mov_b32 s23, 0xbfefc445
	;; [unrolled: 1-line block ×3, first 2 shown]
	v_add_f64_e32 v[86:87], v[16:17], v[32:33]
	v_add_f64_e64 v[88:89], v[32:33], -v[16:17]
	v_add_f64_e64 v[90:91], v[40:41], -v[4:5]
	s_mov_b32 s2, 0x4267c47c
	s_mov_b32 s12, 0x42a4c3d2
	s_mov_b32 s36, 0xb2365da1
	s_mov_b32 s20, 0xd0032e0c
	s_mov_b32 s24, 0x93053d00
	s_mov_b32 s3, 0x3fddbe06
	s_mov_b32 s5, 0xbfddbe06
	s_mov_b32 s13, 0x3fea55e2
	v_add_f64_e32 v[76:77], v[42:43], v[64:65]
	v_add_f64_e32 v[74:75], v[40:41], v[62:63]
	s_mov_b32 s15, 0xbfea55e2
	s_mov_b32 s37, 0xbfd6b1d8
	;; [unrolled: 1-line block ×4, first 2 shown]
	v_mul_f64_e32 v[104:105], s[16:17], v[72:73]
	s_wait_alu 0xfffe
	s_mov_b32 s4, s2
	v_mul_f64_e32 v[114:115], s[22:23], v[70:71]
	s_mov_b32 s14, s12
	v_mul_f64_e32 v[106:107], s[36:37], v[72:73]
	v_mul_f64_e32 v[108:109], s[20:21], v[72:73]
	s_wait_alu 0xfffe
	v_mul_f64_e32 v[110:111], s[4:5], v[70:71]
	v_mul_f64_e32 v[112:113], s[14:15], v[70:71]
	s_mov_b32 s40, 0x2ef20147
	s_mov_b32 s28, 0x24c2f84
	;; [unrolled: 1-line block ×10, first 2 shown]
	s_wait_alu 0xfffe
	s_mov_b32 s30, s28
	s_mov_b32 s34, s26
	v_add_f64_e32 v[40:41], v[26:27], v[30:31]
	v_add_f64_e64 v[62:63], v[30:31], -v[26:27]
	v_add_f64_e32 v[102:103], v[6:7], v[42:43]
	v_add_f64_e64 v[42:43], v[42:43], -v[6:7]
	v_mul_f64_e32 v[116:117], s[38:39], v[70:71]
	s_wait_alu 0xfffe
	v_mul_f64_e32 v[118:119], s[30:31], v[70:71]
	v_mul_f64_e32 v[70:71], s[34:35], v[70:71]
	;; [unrolled: 1-line block ×5, first 2 shown]
	v_add_f64_e32 v[92:93], v[24:25], v[28:29]
	v_add_f64_e64 v[64:65], v[28:29], -v[24:25]
	v_add_f64_e32 v[46:47], v[46:47], v[76:77]
	v_add_f64_e32 v[44:45], v[44:45], v[74:75]
	v_mul_f64_e32 v[74:75], s[0:1], v[72:73]
	v_mul_f64_e32 v[76:77], s[10:11], v[72:73]
	;; [unrolled: 1-line block ×4, first 2 shown]
	v_fma_f64 v[204:205], v[48:49], s[18:19], v[104:105]
	v_mul_f64_e32 v[126:127], s[20:21], v[80:81]
	v_fma_f64 v[210:211], v[60:61], s[16:17], v[114:115]
	v_mul_f64_e32 v[128:129], s[16:17], v[80:81]
	v_mul_f64_e32 v[80:81], s[0:1], v[80:81]
	;; [unrolled: 1-line block ×4, first 2 shown]
	v_fma_f64 v[104:105], v[48:49], s[22:23], v[104:105]
	v_fma_f64 v[206:207], v[48:49], s[40:41], v[106:107]
	v_fma_f64 v[106:107], v[48:49], s[38:39], v[106:107]
	v_fma_f64 v[208:209], v[48:49], s[28:29], v[108:109]
	v_mul_f64_e32 v[136:137], s[28:29], v[90:91]
	v_mul_f64_e32 v[138:139], s[18:19], v[90:91]
	;; [unrolled: 1-line block ×4, first 2 shown]
	v_fma_f64 v[114:115], v[60:61], s[16:17], -v[114:115]
	v_mul_f64_e32 v[140:141], s[16:17], v[94:95]
	v_mul_f64_e32 v[142:143], s[24:25], v[94:95]
	;; [unrolled: 1-line block ×8, first 2 shown]
	v_fma_f64 v[212:213], v[60:61], s[36:37], v[116:117]
	v_fma_f64 v[116:117], v[60:61], s[36:37], -v[116:117]
	v_fma_f64 v[216:217], v[60:61], s[24:25], v[70:71]
	v_fma_f64 v[220:221], v[42:43], s[26:27], v[124:125]
	;; [unrolled: 1-line block ×3, first 2 shown]
	v_fma_f64 v[118:119], v[60:61], s[20:21], -v[118:119]
	v_fma_f64 v[218:219], v[42:43], s[40:41], v[122:123]
	v_fma_f64 v[122:123], v[42:43], s[38:39], v[122:123]
	v_add_f64_e32 v[38:39], v[38:39], v[46:47]
	v_add_f64_e32 v[36:37], v[36:37], v[44:45]
	v_fma_f64 v[200:201], v[48:49], s[2:3], v[74:75]
	v_fma_f64 v[202:203], v[48:49], s[12:13], v[76:77]
	;; [unrolled: 1-line block ×6, first 2 shown]
	v_add_f64_e32 v[210:211], v[22:23], v[210:211]
	v_fma_f64 v[222:223], v[42:43], s[30:31], v[126:127]
	v_fma_f64 v[126:127], v[42:43], s[28:29], v[126:127]
	;; [unrolled: 1-line block ×6, first 2 shown]
	v_fma_f64 v[132:133], v[102:103], s[36:37], -v[132:133]
	v_add_f64_e32 v[104:105], v[20:21], v[104:105]
	v_add_f64_e32 v[206:207], v[20:21], v[206:207]
	v_mul_f64_e32 v[170:171], s[2:3], v[82:83]
	v_add_f64_e32 v[208:209], v[20:21], v[208:209]
	v_add_f64_e32 v[106:107], v[20:21], v[106:107]
	v_mul_f64_e32 v[44:45], s[30:31], v[98:99]
	v_mul_f64_e32 v[160:161], s[0:1], v[78:79]
	v_fma_f64 v[236:237], v[100:101], s[38:39], v[144:145]
	v_add_f64_e32 v[114:115], v[22:23], v[114:115]
	v_mul_f64_e32 v[156:157], s[2:3], v[98:99]
	v_mul_f64_e32 v[158:159], s[14:15], v[98:99]
	;; [unrolled: 1-line block ×4, first 2 shown]
	v_fma_f64 v[134:135], v[102:103], s[24:25], -v[134:135]
	v_add_f64_e32 v[212:213], v[22:23], v[212:213]
	v_add_f64_e32 v[116:117], v[22:23], v[116:117]
	v_add_f64_e32 v[216:217], v[22:23], v[216:217]
	v_fma_f64 v[232:233], v[102:103], s[20:21], v[136:137]
	v_add_f64_e32 v[214:215], v[22:23], v[214:215]
	v_add_f64_e32 v[118:119], v[22:23], v[118:119]
	v_fma_f64 v[136:137], v[102:103], s[20:21], -v[136:137]
	v_fma_f64 v[234:235], v[102:103], s[16:17], v[138:139]
	v_add_f64_e32 v[34:35], v[34:35], v[38:39]
	v_add_f64_e32 v[32:33], v[32:33], v[36:37]
	v_fma_f64 v[36:37], v[48:49], s[30:31], v[108:109]
	v_fma_f64 v[38:39], v[48:49], s[26:27], v[72:73]
	;; [unrolled: 1-line block ×4, first 2 shown]
	v_fma_f64 v[108:109], v[60:61], s[0:1], -v[110:111]
	v_fma_f64 v[110:111], v[60:61], s[10:11], v[112:113]
	v_fma_f64 v[112:113], v[60:61], s[10:11], -v[112:113]
	v_fma_f64 v[60:61], v[60:61], s[24:25], -v[70:71]
	v_fma_f64 v[70:71], v[42:43], s[12:13], v[120:121]
	v_add_f64_e32 v[200:201], v[20:21], v[200:201]
	v_add_f64_e32 v[202:203], v[20:21], v[202:203]
	;; [unrolled: 1-line block ×3, first 2 shown]
	v_fma_f64 v[120:121], v[42:43], s[14:15], v[120:121]
	v_fma_f64 v[42:43], v[42:43], s[2:3], v[80:81]
	;; [unrolled: 1-line block ×3, first 2 shown]
	v_fma_f64 v[130:131], v[102:103], s[10:11], -v[130:131]
	v_add_f64_e32 v[74:75], v[20:21], v[74:75]
	v_fma_f64 v[246:247], v[96:97], s[36:37], v[154:155]
	v_mul_f64_e32 v[162:163], s[16:17], v[78:79]
	v_mul_f64_e32 v[166:167], s[38:39], v[82:83]
	v_fma_f64 v[144:145], v[100:101], s[40:41], v[144:145]
	v_fma_f64 v[238:239], v[100:101], s[4:5], v[146:147]
	;; [unrolled: 1-line block ×8, first 2 shown]
	v_fma_f64 v[152:153], v[96:97], s[24:25], -v[152:153]
	v_add_f64_e32 v[104:105], v[124:125], v[104:105]
	v_add_f64_e32 v[124:125], v[222:223], v[206:207]
	v_mul_f64_e32 v[164:165], s[24:25], v[78:79]
	v_mul_f64_e32 v[78:79], s[10:11], v[78:79]
	;; [unrolled: 1-line block ×3, first 2 shown]
	v_add_f64_e32 v[106:107], v[126:127], v[106:107]
	v_mul_f64_e32 v[172:173], s[22:23], v[82:83]
	v_add_f64_e32 v[30:31], v[30:31], v[34:35]
	v_add_f64_e32 v[28:29], v[28:29], v[32:33]
	;; [unrolled: 1-line block ×4, first 2 shown]
	v_fma_f64 v[34:35], v[102:103], s[0:1], v[90:91]
	v_add_f64_e32 v[72:73], v[22:23], v[72:73]
	v_add_f64_e32 v[108:109], v[22:23], v[108:109]
	;; [unrolled: 1-line block ×4, first 2 shown]
	v_fma_f64 v[90:91], v[102:103], s[0:1], -v[90:91]
	v_add_f64_e32 v[22:23], v[22:23], v[60:61]
	v_fma_f64 v[32:33], v[102:103], s[16:17], -v[138:139]
	v_fma_f64 v[102:103], v[100:101], s[18:19], v[140:141]
	v_fma_f64 v[138:139], v[100:101], s[22:23], v[140:141]
	;; [unrolled: 1-line block ×4, first 2 shown]
	v_add_f64_e32 v[70:71], v[70:71], v[200:201]
	v_add_f64_e32 v[202:203], v[218:219], v[202:203]
	;; [unrolled: 1-line block ×3, first 2 shown]
	v_fma_f64 v[100:101], v[96:97], s[16:17], v[150:151]
	v_fma_f64 v[150:151], v[96:97], s[16:17], -v[150:151]
	v_add_f64_e32 v[74:75], v[120:121], v[74:75]
	v_mul_f64_e32 v[174:175], s[26:27], v[82:83]
	v_mul_f64_e32 v[82:83], s[12:13], v[82:83]
	;; [unrolled: 1-line block ×3, first 2 shown]
	v_fma_f64 v[252:253], v[96:97], s[20:21], v[44:45]
	v_fma_f64 v[44:45], v[96:97], s[20:21], -v[44:45]
	v_mul_f64_e32 v[176:177], s[20:21], v[86:87]
	v_mul_f64_e32 v[178:179], s[16:17], v[86:87]
	v_fma_f64 v[154:155], v[96:97], s[36:37], -v[154:155]
	v_fma_f64 v[248:249], v[96:97], s[0:1], v[156:157]
	v_fma_f64 v[156:157], v[96:97], s[0:1], -v[156:157]
	v_fma_f64 v[250:251], v[96:97], s[10:11], v[158:159]
	;; [unrolled: 2-line block ×3, first 2 shown]
	v_fma_f64 v[254:255], v[84:85], s[30:31], v[98:99]
	v_fma_f64 v[98:99], v[84:85], s[28:29], v[98:99]
	v_add_f64_e32 v[114:115], v[134:135], v[114:115]
	v_add_f64_e32 v[26:27], v[26:27], v[30:31]
	;; [unrolled: 1-line block ×10, first 2 shown]
	v_fma_f64 v[228:229], v[50:51], s[0:1], v[170:171]
	v_add_f64_e32 v[36:37], v[128:129], v[36:37]
	v_fma_f64 v[28:29], v[84:85], s[4:5], v[160:161]
	v_add_f64_e32 v[34:35], v[34:35], v[216:217]
	v_add_f64_e32 v[22:23], v[90:91], v[22:23]
	;; [unrolled: 1-line block ×8, first 2 shown]
	v_mul_f64_e32 v[190:191], s[14:15], v[88:89]
	v_add_f64_e32 v[32:33], v[32:33], v[118:119]
	v_mul_f64_e32 v[182:183], s[24:25], v[86:87]
	v_fma_f64 v[46:47], v[84:85], s[38:39], v[46:47]
	v_fma_f64 v[204:205], v[84:85], s[18:19], v[162:163]
	v_add_f64_e32 v[74:75], v[138:139], v[74:75]
	v_mul_f64_e32 v[184:185], s[0:1], v[86:87]
	v_mul_f64_e32 v[86:87], s[36:37], v[86:87]
	v_fma_f64 v[48:49], v[84:85], s[34:35], v[164:165]
	v_fma_f64 v[60:61], v[84:85], s[26:27], v[164:165]
	;; [unrolled: 1-line block ×4, first 2 shown]
	v_mul_f64_e32 v[188:189], s[18:19], v[88:89]
	v_fma_f64 v[160:161], v[84:85], s[2:3], v[160:161]
	v_fma_f64 v[162:163], v[84:85], s[22:23], v[162:163]
	;; [unrolled: 1-line block ×3, first 2 shown]
	v_add_f64_e32 v[104:105], v[144:145], v[104:105]
	v_add_f64_e32 v[106:107], v[146:147], v[106:107]
	;; [unrolled: 1-line block ×6, first 2 shown]
	v_fma_f64 v[26:27], v[50:51], s[0:1], -v[170:171]
	v_add_f64_e32 v[170:171], v[224:225], v[208:209]
	v_add_f64_e32 v[20:21], v[42:43], v[20:21]
	v_fma_f64 v[220:221], v[50:51], s[36:37], v[166:167]
	v_fma_f64 v[166:167], v[50:51], s[36:37], -v[166:167]
	v_add_f64_e32 v[72:73], v[100:101], v[72:73]
	v_add_f64_e32 v[100:101], v[150:151], v[108:109]
	;; [unrolled: 1-line block ×7, first 2 shown]
	v_mul_f64_e32 v[186:187], s[30:31], v[88:89]
	v_mul_f64_e32 v[84:85], s[20:21], v[92:93]
	v_fma_f64 v[42:43], v[50:51], s[10:11], v[82:83]
	v_fma_f64 v[102:103], v[68:69], s[12:13], v[180:181]
	v_add_f64_e32 v[34:35], v[252:253], v[34:35]
	v_mul_f64_e32 v[192:193], s[26:27], v[88:89]
	v_mul_f64_e32 v[194:195], s[2:3], v[88:89]
	;; [unrolled: 1-line block ×3, first 2 shown]
	v_fma_f64 v[168:169], v[50:51], s[20:21], -v[168:169]
	v_fma_f64 v[132:133], v[50:51], s[16:17], v[172:173]
	v_fma_f64 v[126:127], v[50:51], s[16:17], -v[172:173]
	v_fma_f64 v[172:173], v[50:51], s[24:25], v[174:175]
	v_fma_f64 v[174:175], v[50:51], s[24:25], -v[174:175]
	v_fma_f64 v[50:51], v[50:51], s[10:11], -v[82:83]
	v_add_f64_e32 v[22:23], v[44:45], v[22:23]
	v_mul_f64_e32 v[196:197], s[24:25], v[92:93]
	v_mul_f64_e32 v[198:199], s[0:1], v[92:93]
	v_fma_f64 v[82:83], v[68:69], s[28:29], v[176:177]
	v_fma_f64 v[128:129], v[68:69], s[30:31], v[176:177]
	;; [unrolled: 1-line block ×4, first 2 shown]
	v_add_f64_e32 v[114:115], v[154:155], v[114:115]
	v_add_f64_e32 v[14:15], v[14:15], v[18:19]
	;; [unrolled: 1-line block ×14, first 2 shown]
	v_mul_f64_e32 v[200:201], s[10:11], v[92:93]
	v_fma_f64 v[24:25], v[68:69], s[34:35], v[182:183]
	v_add_f64_e32 v[46:47], v[46:47], v[74:75]
	v_add_f64_e32 v[74:75], v[166:167], v[100:101]
	;; [unrolled: 1-line block ×3, first 2 shown]
	v_mul_f64_e32 v[80:81], s[36:37], v[92:93]
	v_fma_f64 v[140:141], v[68:69], s[4:5], v[184:185]
	v_fma_f64 v[94:95], v[68:69], s[40:41], v[86:87]
	v_add_f64_e32 v[38:39], v[164:165], v[38:39]
	v_mul_f64_e32 v[92:93], s[16:17], v[92:93]
	v_fma_f64 v[18:19], v[68:69], s[14:15], v[180:181]
	v_fma_f64 v[124:125], v[68:69], s[26:27], v[182:183]
	;; [unrolled: 1-line block ×5, first 2 shown]
	v_add_f64_e32 v[90:91], v[130:131], v[108:109]
	v_add_f64_e32 v[98:99], v[160:161], v[104:105]
	;; [unrolled: 1-line block ×4, first 2 shown]
	v_mul_f64_e32 v[120:121], s[34:35], v[64:65]
	v_fma_f64 v[86:87], v[66:67], s[20:21], v[186:187]
	v_add_f64_e32 v[72:73], v[220:221], v[72:73]
	v_add_f64_e32 v[34:35], v[42:43], v[34:35]
	v_fma_f64 v[42:43], v[62:63], s[28:29], v[84:85]
	v_mul_f64_e32 v[218:219], s[2:3], v[64:65]
	v_add_f64_e32 v[10:11], v[10:11], v[14:15]
	v_add_f64_e32 v[28:29], v[28:29], v[30:31]
	v_fma_f64 v[30:31], v[66:67], s[10:11], v[190:191]
	v_add_f64_e32 v[8:9], v[8:9], v[12:13]
	v_add_f64_e32 v[12:13], v[228:229], v[16:17]
	;; [unrolled: 1-line block ×4, first 2 shown]
	v_mul_f64_e32 v[122:123], s[30:31], v[64:65]
	v_fma_f64 v[144:145], v[66:67], s[20:21], -v[186:187]
	v_fma_f64 v[148:149], v[66:67], s[16:17], -v[188:189]
	v_add_f64_e32 v[96:97], v[168:169], v[110:111]
	v_fma_f64 v[14:15], v[66:67], s[10:11], -v[190:191]
	v_fma_f64 v[16:17], v[66:67], s[24:25], v[192:193]
	v_fma_f64 v[106:107], v[66:67], s[24:25], -v[192:193]
	v_fma_f64 v[108:109], v[66:67], s[0:1], v[194:195]
	;; [unrolled: 2-line block ×3, first 2 shown]
	v_fma_f64 v[66:67], v[66:67], s[36:37], -v[88:89]
	v_add_f64_e32 v[22:23], v[50:51], v[22:23]
	v_fma_f64 v[60:61], v[62:63], s[26:27], v[196:197]
	v_fma_f64 v[112:113], v[62:63], s[2:3], v[198:199]
	v_add_f64_e32 v[26:27], v[26:27], v[114:115]
	v_add_f64_e32 v[114:115], v[132:133], v[134:135]
	v_add_f64_e32 v[116:117], v[126:127], v[116:117]
	v_add_f64_e32 v[126:127], v[172:173], v[136:137]
	v_add_f64_e32 v[44:45], v[82:83], v[44:45]
	v_add_f64_e32 v[50:51], v[176:177], v[70:71]
	v_add_f64_e32 v[70:71], v[118:119], v[76:77]
	v_mul_f64_e32 v[76:77], s[12:13], v[64:65]
	v_add_f64_e32 v[32:33], v[174:175], v[32:33]
	v_fma_f64 v[88:89], v[62:63], s[4:5], v[198:199]
	v_add_f64_e32 v[24:25], v[24:25], v[100:101]
	v_add_f64_e32 v[38:39], v[94:95], v[38:39]
	v_fma_f64 v[94:95], v[62:63], s[40:41], v[80:81]
	v_add_f64_e32 v[82:83], v[146:147], v[90:91]
	v_fma_f64 v[90:91], v[62:63], s[12:13], v[200:201]
	;; [unrolled: 2-line block ×3, first 2 shown]
	v_add_f64_e32 v[6:7], v[6:7], v[10:11]
	v_add_f64_e32 v[28:29], v[102:103], v[28:29]
	v_mul_f64_e32 v[10:11], s[38:39], v[64:65]
	v_add_f64_e32 v[4:5], v[4:5], v[8:9]
	v_add_f64_e32 v[8:9], v[30:31], v[12:13]
	v_mul_f64_e32 v[12:13], s[18:19], v[64:65]
	v_fma_f64 v[64:65], v[62:63], s[14:15], v[200:201]
	v_add_f64_e32 v[48:49], v[140:141], v[48:49]
	v_add_f64_e32 v[20:21], v[68:69], v[20:21]
	v_fma_f64 v[68:69], v[62:63], s[22:23], v[92:93]
	v_fma_f64 v[92:93], v[62:63], s[18:19], v[92:93]
	v_add_f64_e32 v[30:31], v[124:125], v[104:105]
	v_add_f64_e32 v[18:19], v[18:19], v[98:99]
	v_fma_f64 v[84:85], v[62:63], s[30:31], v[84:85]
	v_add_f64_e32 v[46:47], v[128:129], v[46:47]
	v_fma_f64 v[62:63], v[62:63], s[34:35], v[196:197]
	v_mul_hi_u32 v104, 0xaf286bcb, v58
	v_add_f64_e32 v[72:73], v[86:87], v[72:73]
	v_add_f64_e32 v[34:35], v[78:79], v[34:35]
	;; [unrolled: 1-line block ×3, first 2 shown]
	v_fma_f64 v[66:67], v[40:41], s[0:1], v[218:219]
	v_fma_f64 v[78:79], v[40:41], s[20:21], v[122:123]
	v_add_f64_e32 v[86:87], v[148:149], v[96:97]
	v_add_f64_e32 v[14:15], v[14:15], v[26:27]
	v_sub_nc_u32_e32 v100, v58, v104
	v_add_f64_e32 v[16:17], v[16:17], v[114:115]
	v_add_f64_e32 v[26:27], v[106:107], v[116:117]
	;; [unrolled: 1-line block ×5, first 2 shown]
	v_fma_f64 v[70:71], v[40:41], s[0:1], -v[218:219]
	v_fma_f64 v[98:99], v[40:41], s[10:11], v[76:77]
	v_lshrrev_b32_e32 v105, 1, v100
	v_fma_f64 v[76:77], v[40:41], s[10:11], -v[76:77]
	v_add_f64_e32 v[32:33], v[110:111], v[32:33]
	v_add_f64_e32 v[50:51], v[88:89], v[50:51]
	v_fma_f64 v[88:89], v[40:41], s[20:21], -v[122:123]
	v_add_f64_e32 v[74:75], v[144:145], v[74:75]
	v_add_nc_u32_e32 v104, v105, v104
	v_add_f64_e32 v[28:29], v[42:43], v[28:29]
	v_fma_f64 v[42:43], v[40:41], s[24:25], v[120:121]
	v_fma_f64 v[100:101], v[40:41], s[36:37], v[10:11]
	v_fma_f64 v[10:11], v[40:41], s[36:37], -v[10:11]
	v_fma_f64 v[102:103], v[40:41], s[16:17], v[12:13]
	v_fma_f64 v[12:13], v[40:41], s[16:17], -v[12:13]
	v_fma_f64 v[40:41], v[40:41], s[24:25], -v[120:121]
	v_add_f64_e32 v[0:1], v[0:1], v[4:5]
	v_add_f64_e32 v[24:25], v[64:65], v[24:25]
	v_lshrrev_b32_e32 v64, 4, v104
	v_add_f64_e32 v[48:49], v[94:95], v[48:49]
	v_add_f64_e32 v[4:5], v[68:69], v[38:39]
	v_add_f64_e32 v[20:21], v[92:93], v[20:21]
	v_add_f64_e32 v[30:31], v[90:91], v[30:31]
	v_add_f64_e32 v[36:37], v[80:81], v[36:37]
	v_add_f64_e32 v[18:19], v[84:85], v[18:19]
	v_mul_lo_u32 v64, v64, 19
	v_add_f64_e32 v[38:39], v[62:63], v[46:47]
	s_load_b64 s[42:43], s[42:43], 0x0
	v_add_f64_e32 v[62:63], v[66:67], v[82:83]
	v_add_f64_e32 v[66:67], v[78:79], v[8:9]
	s_delay_alu instid0(VALU_DEP_4) | instskip(NEXT) | instid1(VALU_DEP_1)
	v_sub_nc_u32_e32 v46, v58, v64
	v_mul_u32_u24_e32 v58, 0xa9, v46
	v_add_f64_e32 v[46:47], v[2:3], v[6:7]
	v_add_f64_e32 v[64:65], v[70:71], v[86:87]
	;; [unrolled: 1-line block ×3, first 2 shown]
	s_delay_alu instid0(VALU_DEP_4)
	v_lshl_add_u32 v2, v58, 3, 0
	v_add_f64_e32 v[68:69], v[88:89], v[14:15]
	v_add_f64_e32 v[42:43], v[42:43], v[72:73]
	;; [unrolled: 1-line block ×7, first 2 shown]
	v_mad_u32_u24 v27, 0x68, v59, v2
	v_add_f64_e32 v[40:41], v[40:41], v[74:75]
	v_lshl_add_u32 v34, v59, 3, v2
	ds_store_2addr_b64 v27, v[0:1], v[44:45] offset1:1
	ds_store_2addr_b64 v27, v[50:51], v[28:29] offset0:2 offset1:3
	ds_store_2addr_b64 v27, v[24:25], v[48:49] offset0:4 offset1:5
	;; [unrolled: 1-line block ×5, first 2 shown]
	ds_store_b64 v27, v[38:39] offset:96
	v_mad_i32_i24 v26, 0xffffffa0, v59, v27
	global_wb scope:SCOPE_SE
	s_wait_dscnt 0x0
	s_wait_kmcnt 0x0
	s_barrier_signal -1
	s_barrier_wait -1
	global_inv scope:SCOPE_SE
	ds_load_b64 v[24:25], v34
	ds_load_2addr_b64 v[8:11], v26 offset0:13 offset1:26
	ds_load_2addr_b64 v[12:15], v26 offset0:39 offset1:52
	;; [unrolled: 1-line block ×6, first 2 shown]
	global_wb scope:SCOPE_SE
	s_wait_dscnt 0x0
	s_barrier_signal -1
	s_barrier_wait -1
	global_inv scope:SCOPE_SE
	ds_store_2addr_b64 v27, v[46:47], v[42:43] offset1:1
	ds_store_2addr_b64 v27, v[62:63], v[66:67] offset0:2 offset1:3
	ds_store_2addr_b64 v27, v[70:71], v[76:77] offset0:4 offset1:5
	;; [unrolled: 1-line block ×5, first 2 shown]
	ds_store_b64 v27, v[40:41] offset:96
	global_wb scope:SCOPE_SE
	s_wait_dscnt 0x0
	s_barrier_signal -1
	s_barrier_wait -1
	global_inv scope:SCOPE_SE
	s_and_saveexec_b32 s33, vcc_lo
	s_cbranch_execz .LBB0_14
; %bb.13:
	v_mul_u32_u24_e32 v27, 12, v59
	s_delay_alu instid0(VALU_DEP_1)
	v_lshlrev_b32_e32 v27, 4, v27
	s_clause 0xb
	global_load_b128 v[38:41], v27, s[8:9] offset:48
	global_load_b128 v[44:47], v27, s[8:9] offset:128
	;; [unrolled: 1-line block ×6, first 2 shown]
	global_load_b128 v[70:73], v27, s[8:9]
	global_load_b128 v[74:77], v27, s[8:9] offset:176
	global_load_b128 v[78:81], v27, s[8:9] offset:80
	;; [unrolled: 1-line block ×5, first 2 shown]
	ds_load_2addr_b64 v[94:97], v26 offset0:13 offset1:26
	ds_load_2addr_b64 v[27:30], v26 offset0:39 offset1:52
	ds_load_2addr_b64 v[98:101], v26 offset0:117 offset1:130
	ds_load_2addr_b64 v[102:105], v26 offset0:143 offset1:156
	ds_load_2addr_b64 v[106:109], v26 offset0:65 offset1:78
	ds_load_2addr_b64 v[110:113], v26 offset0:91 offset1:104
	s_wait_loadcnt 0xb
	v_mul_f64_e32 v[31:32], v[14:15], v[40:41]
	s_wait_dscnt 0x4
	v_mul_f64_e32 v[40:41], v[29:30], v[40:41]
	s_wait_loadcnt_dscnt 0xa03
	v_mul_f64_e32 v[126:127], v[98:99], v[46:47]
	v_mul_f64_e32 v[42:43], v[20:21], v[46:47]
	s_wait_loadcnt 0x9
	v_mul_f64_e32 v[114:115], v[12:13], v[50:51]
	s_wait_loadcnt 0x7
	;; [unrolled: 2-line block ×3, first 2 shown]
	v_mul_f64_e32 v[122:123], v[8:9], v[72:73]
	v_mul_f64_e32 v[72:73], v[94:95], v[72:73]
	;; [unrolled: 1-line block ×3, first 2 shown]
	s_wait_loadcnt 0x4
	v_mul_f64_e32 v[124:125], v[18:19], v[76:77]
	v_mul_f64_e32 v[50:51], v[27:28], v[50:51]
	v_mul_f64_e32 v[64:65], v[96:97], v[64:65]
	s_wait_dscnt 0x2
	v_mul_f64_e32 v[128:129], v[102:103], v[68:69]
	v_mul_f64_e32 v[76:77], v[104:105], v[76:77]
	v_mul_f64_e32 v[116:117], v[22:23], v[60:61]
	v_mul_f64_e32 v[60:61], v[100:101], v[60:61]
	s_wait_loadcnt 0x3
	v_mul_f64_e32 v[130:131], v[2:3], v[80:81]
	s_wait_loadcnt 0x2
	v_mul_f64_e32 v[132:133], v[4:5], v[84:85]
	s_wait_dscnt 0x1
	v_mul_f64_e32 v[80:81], v[108:109], v[80:81]
	s_wait_dscnt 0x0
	v_mul_f64_e32 v[84:85], v[110:111], v[84:85]
	s_wait_loadcnt 0x1
	v_mul_f64_e32 v[134:135], v[0:1], v[88:89]
	s_wait_loadcnt 0x0
	v_mul_f64_e32 v[136:137], v[6:7], v[92:93]
	v_mul_f64_e32 v[88:89], v[106:107], v[88:89]
	;; [unrolled: 1-line block ×3, first 2 shown]
	v_fma_f64 v[36:37], v[29:30], v[38:39], v[31:32]
	v_fma_f64 v[38:39], v[14:15], v[38:39], -v[40:41]
	v_fma_f64 v[14:15], v[20:21], v[44:45], -v[126:127]
	ds_load_b64 v[20:21], v34
	v_fma_f64 v[32:33], v[98:99], v[44:45], v[42:43]
	v_fma_f64 v[42:43], v[27:28], v[48:49], v[114:115]
	;; [unrolled: 1-line block ×3, first 2 shown]
	v_fma_f64 v[70:71], v[8:9], v[70:71], -v[72:73]
	v_fma_f64 v[46:47], v[96:97], v[62:63], v[118:119]
	v_fma_f64 v[28:29], v[102:103], v[66:67], v[120:121]
	;; [unrolled: 1-line block ×3, first 2 shown]
	v_fma_f64 v[44:45], v[12:13], v[48:49], -v[50:51]
	v_fma_f64 v[48:49], v[10:11], v[62:63], -v[64:65]
	;; [unrolled: 1-line block ×4, first 2 shown]
	v_fma_f64 v[30:31], v[100:101], v[58:59], v[116:117]
	v_fma_f64 v[12:13], v[22:23], v[58:59], -v[60:61]
	v_fma_f64 v[22:23], v[108:109], v[78:79], v[130:131]
	v_fma_f64 v[34:35], v[2:3], v[78:79], -v[80:81]
	v_fma_f64 v[2:3], v[4:5], v[82:83], -v[84:85]
	v_fma_f64 v[40:41], v[106:107], v[86:87], v[134:135]
	v_fma_f64 v[18:19], v[110:111], v[82:83], v[132:133]
	v_fma_f64 v[4:5], v[0:1], v[86:87], -v[88:89]
	v_fma_f64 v[0:1], v[6:7], v[90:91], -v[92:93]
	v_fma_f64 v[16:17], v[112:113], v[90:91], v[136:137]
	v_add_f64_e64 v[76:77], v[38:39], -v[14:15]
	v_add_f64_e32 v[84:85], v[38:39], v[14:15]
	v_add_f64_e32 v[50:51], v[36:37], v[32:33]
	v_add_f64_e64 v[64:65], v[36:37], -v[32:33]
	s_wait_dscnt 0x0
	v_add_f64_e32 v[72:73], v[20:21], v[68:69]
	v_add_f64_e32 v[74:75], v[24:25], v[70:71]
	;; [unrolled: 1-line block ×3, first 2 shown]
	v_add_f64_e64 v[6:7], v[46:47], -v[28:29]
	v_add_f64_e32 v[62:63], v[68:69], v[26:27]
	v_add_f64_e64 v[68:69], v[68:69], -v[26:27]
	v_add_f64_e64 v[80:81], v[48:49], -v[10:11]
	v_add_f64_e32 v[88:89], v[48:49], v[10:11]
	v_add_f64_e32 v[58:59], v[42:43], v[30:31]
	v_add_f64_e64 v[66:67], v[42:43], -v[30:31]
	v_add_f64_e64 v[78:79], v[44:45], -v[12:13]
	v_add_f64_e32 v[86:87], v[44:45], v[12:13]
	v_add_f64_e64 v[82:83], v[70:71], -v[8:9]
	v_add_f64_e32 v[70:71], v[70:71], v[8:9]
	v_add_f64_e32 v[90:91], v[22:23], v[18:19]
	v_add_f64_e64 v[94:95], v[22:23], -v[18:19]
	v_add_f64_e64 v[100:101], v[4:5], -v[0:1]
	v_add_f64_e32 v[104:105], v[4:5], v[0:1]
	v_add_f64_e32 v[92:93], v[40:41], v[16:17]
	v_add_f64_e64 v[96:97], v[40:41], -v[16:17]
	v_add_f64_e64 v[98:99], v[34:35], -v[2:3]
	v_add_f64_e32 v[102:103], v[34:35], v[2:3]
	v_mul_f64_e32 v[106:107], s[10:11], v[50:51]
	v_mul_f64_e32 v[120:121], s[24:25], v[50:51]
	v_add_f64_e32 v[46:47], v[46:47], v[72:73]
	v_add_f64_e32 v[48:49], v[48:49], v[74:75]
	v_mul_f64_e32 v[130:131], s[16:17], v[50:51]
	v_mul_f64_e32 v[138:139], s[22:23], v[64:65]
	;; [unrolled: 1-line block ×36, first 2 shown]
	v_add_f64_e32 v[42:43], v[42:43], v[46:47]
	v_add_f64_e32 v[44:45], v[44:45], v[48:49]
	v_mul_f64_e32 v[48:49], s[14:15], v[68:69]
	v_mul_f64_e32 v[46:47], s[22:23], v[68:69]
	;; [unrolled: 1-line block ×7, first 2 shown]
	v_fma_f64 v[178:179], v[76:77], s[14:15], v[106:107]
	v_fma_f64 v[180:181], v[78:79], s[28:29], v[108:109]
	;; [unrolled: 1-line block ×24, first 2 shown]
	v_fma_f64 v[172:173], v[70:71], s[24:25], -v[172:173]
	v_fma_f64 v[236:237], v[76:77], s[40:41], v[50:51]
	v_fma_f64 v[238:239], v[70:71], s[20:21], v[174:175]
	;; [unrolled: 1-line block ×3, first 2 shown]
	v_mul_f64_e32 v[168:169], s[34:35], v[6:7]
	v_add_f64_e32 v[36:37], v[36:37], v[42:43]
	v_add_f64_e32 v[38:39], v[38:39], v[44:45]
	v_fma_f64 v[42:43], v[82:83], s[38:39], v[136:137]
	v_fma_f64 v[44:45], v[84:85], s[16:17], -v[138:139]
	v_fma_f64 v[136:137], v[86:87], s[0:1], -v[140:141]
	v_fma_f64 v[138:139], v[76:77], s[4:5], v[142:143]
	v_fma_f64 v[140:141], v[78:79], s[38:39], v[144:145]
	;; [unrolled: 1-line block ×6, first 2 shown]
	v_fma_f64 v[78:79], v[70:71], s[20:21], -v[174:175]
	v_fma_f64 v[242:243], v[70:71], s[10:11], v[48:49]
	v_fma_f64 v[48:49], v[70:71], s[10:11], -v[48:49]
	v_fma_f64 v[196:197], v[82:83], s[28:29], v[74:75]
	v_fma_f64 v[216:217], v[82:83], s[18:19], v[148:149]
	;; [unrolled: 1-line block ×4, first 2 shown]
	v_fma_f64 v[46:47], v[70:71], s[16:17], -v[46:47]
	v_mul_f64_e32 v[166:167], s[28:29], v[6:7]
	v_fma_f64 v[186:187], v[84:85], s[10:11], v[114:115]
	v_fma_f64 v[114:115], v[84:85], s[10:11], -v[114:115]
	v_fma_f64 v[198:199], v[84:85], s[24:25], v[124:125]
	v_fma_f64 v[74:75], v[82:83], s[30:31], v[74:75]
	v_fma_f64 v[124:125], v[84:85], s[24:25], -v[124:125]
	v_fma_f64 v[218:219], v[84:85], s[0:1], v[150:151]
	v_fma_f64 v[150:151], v[84:85], s[0:1], -v[150:151]
	;; [unrolled: 2-line block ×3, first 2 shown]
	v_fma_f64 v[174:175], v[80:81], s[12:13], v[60:61]
	v_fma_f64 v[182:183], v[80:81], s[4:5], v[110:111]
	;; [unrolled: 1-line block ×9, first 2 shown]
	v_add_f64_e32 v[36:37], v[40:41], v[36:37]
	v_add_f64_e32 v[4:5], v[4:5], v[38:39]
	v_fma_f64 v[40:41], v[80:81], s[14:15], v[60:61]
	v_fma_f64 v[38:39], v[82:83], s[2:3], v[62:63]
	;; [unrolled: 1-line block ×4, first 2 shown]
	v_fma_f64 v[64:65], v[84:85], s[36:37], -v[64:65]
	v_fma_f64 v[84:85], v[70:71], s[36:37], -v[176:177]
	v_fma_f64 v[226:227], v[80:81], s[40:41], v[158:159]
	v_fma_f64 v[158:159], v[80:81], s[38:39], v[158:159]
	;; [unrolled: 1-line block ×3, first 2 shown]
	v_mul_f64_e32 v[6:7], s[14:15], v[6:7]
	v_fma_f64 v[244:245], v[70:71], s[0:1], v[68:69]
	v_fma_f64 v[68:69], v[70:71], s[0:1], -v[68:69]
	v_fma_f64 v[188:189], v[86:87], s[20:21], v[116:117]
	v_fma_f64 v[116:117], v[86:87], s[20:21], -v[116:117]
	;; [unrolled: 2-line block ×8, first 2 shown]
	v_add_f64_e32 v[184:185], v[20:21], v[184:185]
	v_add_f64_e32 v[112:113], v[20:21], v[112:113]
	;; [unrolled: 1-line block ×3, first 2 shown]
	v_fma_f64 v[248:249], v[88:89], s[36:37], v[170:171]
	v_fma_f64 v[170:171], v[88:89], s[36:37], -v[170:171]
	v_add_f64_e32 v[238:239], v[24:25], v[238:239]
	v_add_f64_e32 v[78:79], v[24:25], v[78:79]
	;; [unrolled: 1-line block ×7, first 2 shown]
	v_fma_f64 v[246:247], v[88:89], s[24:25], v[168:169]
	v_fma_f64 v[168:169], v[88:89], s[24:25], -v[168:169]
	v_add_f64_e32 v[196:197], v[20:21], v[196:197]
	v_add_f64_e32 v[148:149], v[20:21], v[148:149]
	;; [unrolled: 1-line block ×3, first 2 shown]
	v_fma_f64 v[70:71], v[88:89], s[20:21], v[166:167]
	v_fma_f64 v[166:167], v[88:89], s[20:21], -v[166:167]
	v_add_f64_e32 v[74:75], v[20:21], v[74:75]
	v_add_f64_e32 v[84:85], v[24:25], v[84:85]
	;; [unrolled: 1-line block ×9, first 2 shown]
	v_fma_f64 v[250:251], v[88:89], s[10:11], v[6:7]
	v_fma_f64 v[6:7], v[88:89], s[10:11], -v[6:7]
	v_add_f64_e32 v[38:39], v[20:21], v[38:39]
	v_add_f64_e32 v[20:21], v[20:21], v[60:61]
	;; [unrolled: 1-line block ×4, first 2 shown]
	v_mul_f64_e32 v[36:37], s[36:37], v[92:93]
	v_mul_f64_e32 v[60:61], s[38:39], v[96:97]
	;; [unrolled: 1-line block ×4, first 2 shown]
	v_add_f64_e32 v[182:183], v[182:183], v[184:185]
	v_add_f64_e32 v[110:111], v[110:111], v[112:113]
	v_add_f64_e32 v[118:119], v[118:119], v[172:173]
	v_mul_f64_e32 v[184:185], s[0:1], v[92:93]
	v_mul_f64_e32 v[112:113], s[2:3], v[96:97]
	v_add_f64_e32 v[176:177], v[176:177], v[238:239]
	v_add_f64_e32 v[78:79], v[128:129], v[78:79]
	;; [unrolled: 1-line block ×7, first 2 shown]
	v_mul_f64_e32 v[22:23], s[10:11], v[92:93]
	v_mul_f64_e32 v[134:135], s[16:17], v[92:93]
	v_add_f64_e32 v[194:195], v[194:195], v[196:197]
	v_add_f64_e32 v[146:147], v[146:147], v[148:149]
	;; [unrolled: 1-line block ×3, first 2 shown]
	v_mul_f64_e32 v[196:197], s[24:25], v[92:93]
	v_mul_f64_e32 v[92:93], s[20:21], v[92:93]
	v_add_f64_e32 v[72:73], v[72:73], v[74:75]
	v_add_f64_e32 v[84:85], v[166:167], v[84:85]
	;; [unrolled: 1-line block ×9, first 2 shown]
	v_mul_f64_e32 v[74:75], s[26:27], v[96:97]
	v_mul_f64_e32 v[208:209], s[14:15], v[96:97]
	v_add_f64_e32 v[38:39], v[174:175], v[38:39]
	v_add_f64_e32 v[20:21], v[40:41], v[20:21]
	v_mul_f64_e32 v[216:217], s[18:19], v[96:97]
	v_add_f64_e32 v[6:7], v[6:7], v[24:25]
	v_mul_f64_e32 v[96:97], s[30:31], v[96:97]
	v_mul_f64_e32 v[34:35], s[18:19], v[94:95]
	;; [unrolled: 1-line block ×4, first 2 shown]
	v_add_f64_e32 v[180:181], v[180:181], v[182:183]
	v_add_f64_e32 v[108:109], v[108:109], v[110:111]
	;; [unrolled: 1-line block ×3, first 2 shown]
	v_mul_f64_e32 v[166:167], s[2:3], v[94:95]
	v_fma_f64 v[148:149], v[100:101], s[40:41], v[36:37]
	v_add_f64_e32 v[118:119], v[200:201], v[176:177]
	v_add_f64_e32 v[78:79], v[126:127], v[78:79]
	;; [unrolled: 1-line block ×8, first 2 shown]
	v_fma_f64 v[160:161], v[104:105], s[36:37], v[60:61]
	v_add_f64_e32 v[116:117], v[192:193], v[194:195]
	v_add_f64_e32 v[126:127], v[144:145], v[146:147]
	;; [unrolled: 1-line block ×3, first 2 shown]
	v_fma_f64 v[36:37], v[100:101], s[38:39], v[36:37]
	v_fma_f64 v[60:61], v[104:105], s[36:37], -v[60:61]
	v_add_f64_e32 v[72:73], v[122:123], v[72:73]
	v_add_f64_e32 v[84:85], v[136:137], v[84:85]
	;; [unrolled: 1-line block ×9, first 2 shown]
	v_fma_f64 v[170:171], v[98:99], s[40:41], v[68:69]
	v_fma_f64 v[228:229], v[100:101], s[4:5], v[184:185]
	v_add_f64_e32 v[38:39], v[76:77], v[38:39]
	v_add_f64_e32 v[20:21], v[58:59], v[20:21]
	v_fma_f64 v[174:175], v[104:105], s[0:1], v[112:113]
	v_add_f64_e32 v[6:7], v[66:67], v[6:7]
	v_fma_f64 v[18:19], v[98:99], s[38:39], v[68:69]
	v_fma_f64 v[24:25], v[100:101], s[2:3], v[184:185]
	v_fma_f64 v[68:69], v[104:105], s[0:1], -v[112:113]
	v_fma_f64 v[184:185], v[100:101], s[34:35], v[196:197]
	v_fma_f64 v[244:245], v[104:105], s[24:25], v[74:75]
	;; [unrolled: 1-line block ×3, first 2 shown]
	v_fma_f64 v[74:75], v[104:105], s[24:25], -v[74:75]
	v_fma_f64 v[58:59], v[104:105], s[10:11], -v[208:209]
	v_fma_f64 v[66:67], v[100:101], s[22:23], v[134:135]
	v_fma_f64 v[76:77], v[104:105], s[16:17], v[216:217]
	;; [unrolled: 1-line block ×5, first 2 shown]
	v_fma_f64 v[96:97], v[104:105], s[20:21], -v[96:97]
	v_add_f64_e32 v[16:17], v[32:33], v[16:17]
	v_add_f64_e32 v[0:1], v[14:15], v[0:1]
	;; [unrolled: 1-line block ×3, first 2 shown]
	v_fma_f64 v[14:15], v[100:101], s[12:13], v[22:23]
	v_fma_f64 v[32:33], v[104:105], s[10:11], v[208:209]
	v_fma_f64 v[22:23], v[100:101], s[14:15], v[22:23]
	v_fma_f64 v[82:83], v[100:101], s[18:19], v[134:135]
	v_fma_f64 v[134:135], v[104:105], s[16:17], -v[216:217]
	v_add_f64_e32 v[100:101], v[178:179], v[180:181]
	v_add_f64_e32 v[104:105], v[106:107], v[108:109]
	;; [unrolled: 1-line block ×7, first 2 shown]
	v_mul_f64_e32 v[128:129], s[20:21], v[90:91]
	v_add_f64_e32 v[108:109], v[190:191], v[116:117]
	v_add_f64_e32 v[116:117], v[142:143], v[126:127]
	;; [unrolled: 1-line block ×3, first 2 shown]
	v_mul_f64_e32 v[234:235], s[38:39], v[94:95]
	v_mul_f64_e32 v[172:173], s[10:11], v[90:91]
	v_mul_f64_e32 v[238:239], s[12:13], v[94:95]
	v_add_f64_e32 v[72:73], v[120:121], v[72:73]
	v_add_f64_e32 v[42:43], v[130:131], v[42:43]
	;; [unrolled: 1-line block ×4, first 2 shown]
	v_mul_f64_e32 v[90:91], s[24:25], v[90:91]
	v_add_f64_e32 v[114:115], v[202:203], v[122:123]
	v_add_f64_e32 v[70:71], v[210:211], v[70:71]
	;; [unrolled: 1-line block ×6, first 2 shown]
	v_mul_f64_e32 v[94:95], s[34:35], v[94:95]
	v_add_f64_e32 v[20:21], v[50:51], v[20:21]
	v_add_f64_e32 v[6:7], v[64:65], v[6:7]
	;; [unrolled: 1-line block ×3, first 2 shown]
	v_fma_f64 v[246:247], v[98:99], s[22:23], v[88:89]
	v_add_f64_e32 v[16:17], v[30:31], v[16:17]
	v_add_f64_e32 v[0:1], v[12:13], v[0:1]
	;; [unrolled: 1-line block ×3, first 2 shown]
	v_fma_f64 v[168:169], v[102:103], s[16:17], v[34:35]
	v_fma_f64 v[34:35], v[102:103], s[16:17], -v[34:35]
	v_fma_f64 v[62:63], v[102:103], s[20:21], v[4:5]
	v_fma_f64 v[64:65], v[102:103], s[20:21], -v[4:5]
	v_fma_f64 v[126:127], v[98:99], s[4:5], v[80:81]
	v_fma_f64 v[80:81], v[98:99], s[2:3], v[80:81]
	v_fma_f64 v[130:131], v[102:103], s[0:1], -v[166:167]
	v_add_f64_e32 v[4:5], v[148:149], v[100:101]
	v_add_f64_e32 v[60:61], v[60:61], v[106:107]
	;; [unrolled: 1-line block ×5, first 2 shown]
	v_fma_f64 v[30:31], v[98:99], s[30:31], v[128:129]
	v_fma_f64 v[88:89], v[98:99], s[18:19], v[88:89]
	v_add_f64_e32 v[22:23], v[22:23], v[116:117]
	v_add_f64_e32 v[46:47], v[58:59], v[46:47]
	v_fma_f64 v[248:249], v[102:103], s[36:37], v[234:235]
	v_fma_f64 v[40:41], v[102:103], s[36:37], -v[234:235]
	v_fma_f64 v[112:113], v[98:99], s[14:15], v[172:173]
	v_fma_f64 v[234:235], v[102:103], s[10:11], v[238:239]
	;; [unrolled: 1-line block ×3, first 2 shown]
	v_fma_f64 v[238:239], v[102:103], s[10:11], -v[238:239]
	v_add_f64_e32 v[24:25], v[24:25], v[72:73]
	v_add_f64_e32 v[42:43], v[196:197], v[42:43]
	v_add_f64_e32 v[44:45], v[74:75], v[44:45]
	v_add_f64_e32 v[36:37], v[36:37], v[104:105]
	v_add_f64_e32 v[12:13], v[160:161], v[86:87]
	v_fma_f64 v[50:51], v[98:99], s[28:29], v[128:129]
	v_fma_f64 v[132:133], v[98:99], s[26:27], v[90:91]
	;; [unrolled: 1-line block ×3, first 2 shown]
	v_add_f64_e32 v[86:87], v[228:229], v[108:109]
	v_add_f64_e32 v[98:99], v[174:175], v[110:111]
	;; [unrolled: 1-line block ×6, first 2 shown]
	v_fma_f64 v[128:129], v[102:103], s[0:1], v[166:167]
	v_add_f64_e32 v[66:67], v[66:67], v[122:123]
	v_add_f64_e32 v[76:77], v[76:77], v[124:125]
	v_fma_f64 v[136:137], v[102:103], s[24:25], v[94:95]
	v_fma_f64 v[94:95], v[102:103], s[24:25], -v[94:95]
	v_add_f64_e32 v[84:85], v[92:93], v[20:21]
	v_add_f64_e32 v[92:93], v[96:97], v[6:7]
	;; [unrolled: 1-line block ×6, first 2 shown]
	v_mul_lo_u32 v0, s43, v54
	v_mul_lo_u32 v1, s42, v55
	v_mad_co_u64_u32 v[54:55], null, s42, v54, 0
	v_add_f64_e32 v[2:3], v[246:247], v[4:5]
	v_add_f64_e32 v[4:5], v[34:35], v[60:61]
	;; [unrolled: 1-line block ×7, first 2 shown]
	v_add3_u32 v55, v55, v1, v0
	v_add_f64_e32 v[16:17], v[18:19], v[24:25]
	v_add_f64_e32 v[24:25], v[172:173], v[42:43]
	;; [unrolled: 1-line block ×19, first 2 shown]
	v_lshlrev_b64_e32 v[8:9], 4, v[54:55]
	v_lshlrev_b64_e32 v[26:27], 4, v[52:53]
	s_delay_alu instid0(VALU_DEP_2) | instskip(SKIP_1) | instid1(VALU_DEP_3)
	v_add_co_u32 v52, vcc_lo, s6, v8
	s_wait_alu 0xfffd
	v_add_co_ci_u32_e32 v53, vcc_lo, s7, v9, vcc_lo
	v_lshlrev_b64_e32 v[8:9], 4, v[56:57]
	s_delay_alu instid0(VALU_DEP_3) | instskip(SKIP_1) | instid1(VALU_DEP_3)
	v_add_co_u32 v26, vcc_lo, v52, v26
	s_wait_alu 0xfffd
	v_add_co_ci_u32_e32 v27, vcc_lo, v53, v27, vcc_lo
	s_delay_alu instid0(VALU_DEP_2) | instskip(SKIP_1) | instid1(VALU_DEP_2)
	v_add_co_u32 v8, vcc_lo, v26, v8
	s_wait_alu 0xfffd
	v_add_co_ci_u32_e32 v9, vcc_lo, v27, v9, vcc_lo
	s_clause 0xc
	global_store_b128 v[8:9], v[32:35], off offset:416
	global_store_b128 v[8:9], v[28:31], off offset:624
	;; [unrolled: 1-line block ×11, first 2 shown]
	global_store_b128 v[8:9], v[58:61], off
	global_store_b128 v[8:9], v[44:47], off offset:2496
.LBB0_14:
	s_nop 0
	s_sendmsg sendmsg(MSG_DEALLOC_VGPRS)
	s_endpgm
	.section	.rodata,"a",@progbits
	.p2align	6, 0x0
	.amdhsa_kernel fft_rtc_fwd_len169_factors_13_13_wgs_247_tpt_13_halfLds_dp_op_CI_CI_unitstride_sbrr_dirReg
		.amdhsa_group_segment_fixed_size 0
		.amdhsa_private_segment_fixed_size 0
		.amdhsa_kernarg_size 104
		.amdhsa_user_sgpr_count 2
		.amdhsa_user_sgpr_dispatch_ptr 0
		.amdhsa_user_sgpr_queue_ptr 0
		.amdhsa_user_sgpr_kernarg_segment_ptr 1
		.amdhsa_user_sgpr_dispatch_id 0
		.amdhsa_user_sgpr_private_segment_size 0
		.amdhsa_wavefront_size32 1
		.amdhsa_uses_dynamic_stack 0
		.amdhsa_enable_private_segment 0
		.amdhsa_system_sgpr_workgroup_id_x 1
		.amdhsa_system_sgpr_workgroup_id_y 0
		.amdhsa_system_sgpr_workgroup_id_z 0
		.amdhsa_system_sgpr_workgroup_info 0
		.amdhsa_system_vgpr_workitem_id 0
		.amdhsa_next_free_vgpr 256
		.amdhsa_next_free_sgpr 44
		.amdhsa_reserve_vcc 1
		.amdhsa_float_round_mode_32 0
		.amdhsa_float_round_mode_16_64 0
		.amdhsa_float_denorm_mode_32 3
		.amdhsa_float_denorm_mode_16_64 3
		.amdhsa_fp16_overflow 0
		.amdhsa_workgroup_processor_mode 1
		.amdhsa_memory_ordered 1
		.amdhsa_forward_progress 0
		.amdhsa_round_robin_scheduling 0
		.amdhsa_exception_fp_ieee_invalid_op 0
		.amdhsa_exception_fp_denorm_src 0
		.amdhsa_exception_fp_ieee_div_zero 0
		.amdhsa_exception_fp_ieee_overflow 0
		.amdhsa_exception_fp_ieee_underflow 0
		.amdhsa_exception_fp_ieee_inexact 0
		.amdhsa_exception_int_div_zero 0
	.end_amdhsa_kernel
	.text
.Lfunc_end0:
	.size	fft_rtc_fwd_len169_factors_13_13_wgs_247_tpt_13_halfLds_dp_op_CI_CI_unitstride_sbrr_dirReg, .Lfunc_end0-fft_rtc_fwd_len169_factors_13_13_wgs_247_tpt_13_halfLds_dp_op_CI_CI_unitstride_sbrr_dirReg
                                        ; -- End function
	.section	.AMDGPU.csdata,"",@progbits
; Kernel info:
; codeLenInByte = 7712
; NumSgprs: 46
; NumVgprs: 256
; ScratchSize: 0
; MemoryBound: 1
; FloatMode: 240
; IeeeMode: 1
; LDSByteSize: 0 bytes/workgroup (compile time only)
; SGPRBlocks: 5
; VGPRBlocks: 31
; NumSGPRsForWavesPerEU: 46
; NumVGPRsForWavesPerEU: 256
; Occupancy: 5
; WaveLimiterHint : 1
; COMPUTE_PGM_RSRC2:SCRATCH_EN: 0
; COMPUTE_PGM_RSRC2:USER_SGPR: 2
; COMPUTE_PGM_RSRC2:TRAP_HANDLER: 0
; COMPUTE_PGM_RSRC2:TGID_X_EN: 1
; COMPUTE_PGM_RSRC2:TGID_Y_EN: 0
; COMPUTE_PGM_RSRC2:TGID_Z_EN: 0
; COMPUTE_PGM_RSRC2:TIDIG_COMP_CNT: 0
	.text
	.p2alignl 7, 3214868480
	.fill 96, 4, 3214868480
	.type	__hip_cuid_85ace862f6795b92,@object ; @__hip_cuid_85ace862f6795b92
	.section	.bss,"aw",@nobits
	.globl	__hip_cuid_85ace862f6795b92
__hip_cuid_85ace862f6795b92:
	.byte	0                               ; 0x0
	.size	__hip_cuid_85ace862f6795b92, 1

	.ident	"AMD clang version 19.0.0git (https://github.com/RadeonOpenCompute/llvm-project roc-6.4.0 25133 c7fe45cf4b819c5991fe208aaa96edf142730f1d)"
	.section	".note.GNU-stack","",@progbits
	.addrsig
	.addrsig_sym __hip_cuid_85ace862f6795b92
	.amdgpu_metadata
---
amdhsa.kernels:
  - .args:
      - .actual_access:  read_only
        .address_space:  global
        .offset:         0
        .size:           8
        .value_kind:     global_buffer
      - .offset:         8
        .size:           8
        .value_kind:     by_value
      - .actual_access:  read_only
        .address_space:  global
        .offset:         16
        .size:           8
        .value_kind:     global_buffer
      - .actual_access:  read_only
        .address_space:  global
        .offset:         24
        .size:           8
        .value_kind:     global_buffer
      - .actual_access:  read_only
        .address_space:  global
        .offset:         32
        .size:           8
        .value_kind:     global_buffer
      - .offset:         40
        .size:           8
        .value_kind:     by_value
      - .actual_access:  read_only
        .address_space:  global
        .offset:         48
        .size:           8
        .value_kind:     global_buffer
      - .actual_access:  read_only
        .address_space:  global
        .offset:         56
        .size:           8
        .value_kind:     global_buffer
      - .offset:         64
        .size:           4
        .value_kind:     by_value
      - .actual_access:  read_only
        .address_space:  global
        .offset:         72
        .size:           8
        .value_kind:     global_buffer
      - .actual_access:  read_only
        .address_space:  global
        .offset:         80
        .size:           8
        .value_kind:     global_buffer
      - .actual_access:  read_only
        .address_space:  global
        .offset:         88
        .size:           8
        .value_kind:     global_buffer
      - .actual_access:  write_only
        .address_space:  global
        .offset:         96
        .size:           8
        .value_kind:     global_buffer
    .group_segment_fixed_size: 0
    .kernarg_segment_align: 8
    .kernarg_segment_size: 104
    .language:       OpenCL C
    .language_version:
      - 2
      - 0
    .max_flat_workgroup_size: 247
    .name:           fft_rtc_fwd_len169_factors_13_13_wgs_247_tpt_13_halfLds_dp_op_CI_CI_unitstride_sbrr_dirReg
    .private_segment_fixed_size: 0
    .sgpr_count:     46
    .sgpr_spill_count: 0
    .symbol:         fft_rtc_fwd_len169_factors_13_13_wgs_247_tpt_13_halfLds_dp_op_CI_CI_unitstride_sbrr_dirReg.kd
    .uniform_work_group_size: 1
    .uses_dynamic_stack: false
    .vgpr_count:     256
    .vgpr_spill_count: 0
    .wavefront_size: 32
    .workgroup_processor_mode: 1
amdhsa.target:   amdgcn-amd-amdhsa--gfx1201
amdhsa.version:
  - 1
  - 2
...

	.end_amdgpu_metadata
